;; amdgpu-corpus repo=ROCm/rocFFT kind=compiled arch=gfx906 opt=O3
	.text
	.amdgcn_target "amdgcn-amd-amdhsa--gfx906"
	.amdhsa_code_object_version 6
	.protected	fft_rtc_back_len1452_factors_11_3_11_4_wgs_132_tpt_132_halfLds_dp_op_CI_CI_unitstride_sbrr_dirReg ; -- Begin function fft_rtc_back_len1452_factors_11_3_11_4_wgs_132_tpt_132_halfLds_dp_op_CI_CI_unitstride_sbrr_dirReg
	.globl	fft_rtc_back_len1452_factors_11_3_11_4_wgs_132_tpt_132_halfLds_dp_op_CI_CI_unitstride_sbrr_dirReg
	.p2align	8
	.type	fft_rtc_back_len1452_factors_11_3_11_4_wgs_132_tpt_132_halfLds_dp_op_CI_CI_unitstride_sbrr_dirReg,@function
fft_rtc_back_len1452_factors_11_3_11_4_wgs_132_tpt_132_halfLds_dp_op_CI_CI_unitstride_sbrr_dirReg: ; @fft_rtc_back_len1452_factors_11_3_11_4_wgs_132_tpt_132_halfLds_dp_op_CI_CI_unitstride_sbrr_dirReg
; %bb.0:
	s_load_dwordx4 s[12:15], s[4:5], 0x58
	s_load_dwordx4 s[8:11], s[4:5], 0x0
	;; [unrolled: 1-line block ×3, first 2 shown]
	v_mul_u32_u24_e32 v1, 0x1f1, v0
	v_add_u32_sdwa v6, s6, v1 dst_sel:DWORD dst_unused:UNUSED_PAD src0_sel:DWORD src1_sel:WORD_1
	v_mov_b32_e32 v1, 0
	s_waitcnt lgkmcnt(0)
	v_cmp_lt_u64_e64 s[0:1], s[10:11], 2
	v_mov_b32_e32 v4, 0
	v_mov_b32_e32 v7, v1
	s_and_b64 vcc, exec, s[0:1]
	v_mov_b32_e32 v5, 0
	s_cbranch_vccnz .LBB0_8
; %bb.1:
	s_load_dwordx2 s[0:1], s[4:5], 0x10
	s_add_u32 s2, s18, 8
	s_addc_u32 s3, s19, 0
	s_add_u32 s6, s16, 8
	v_mov_b32_e32 v4, 0
	s_addc_u32 s7, s17, 0
	v_mov_b32_e32 v5, 0
	s_waitcnt lgkmcnt(0)
	s_add_u32 s20, s0, 8
	v_mov_b32_e32 v61, v5
	s_addc_u32 s21, s1, 0
	s_mov_b64 s[22:23], 1
	v_mov_b32_e32 v60, v4
.LBB0_2:                                ; =>This Inner Loop Header: Depth=1
	s_load_dwordx2 s[24:25], s[20:21], 0x0
                                        ; implicit-def: $vgpr62_vgpr63
	s_waitcnt lgkmcnt(0)
	v_or_b32_e32 v2, s25, v7
	v_cmp_ne_u64_e32 vcc, 0, v[1:2]
	s_and_saveexec_b64 s[0:1], vcc
	s_xor_b64 s[26:27], exec, s[0:1]
	s_cbranch_execz .LBB0_4
; %bb.3:                                ;   in Loop: Header=BB0_2 Depth=1
	v_cvt_f32_u32_e32 v2, s24
	v_cvt_f32_u32_e32 v3, s25
	s_sub_u32 s0, 0, s24
	s_subb_u32 s1, 0, s25
	v_mac_f32_e32 v2, 0x4f800000, v3
	v_rcp_f32_e32 v2, v2
	v_mul_f32_e32 v2, 0x5f7ffffc, v2
	v_mul_f32_e32 v3, 0x2f800000, v2
	v_trunc_f32_e32 v3, v3
	v_mac_f32_e32 v2, 0xcf800000, v3
	v_cvt_u32_f32_e32 v3, v3
	v_cvt_u32_f32_e32 v2, v2
	v_mul_lo_u32 v8, s0, v3
	v_mul_hi_u32 v9, s0, v2
	v_mul_lo_u32 v11, s1, v2
	v_mul_lo_u32 v10, s0, v2
	v_add_u32_e32 v8, v9, v8
	v_add_u32_e32 v8, v8, v11
	v_mul_hi_u32 v9, v2, v10
	v_mul_lo_u32 v11, v2, v8
	v_mul_hi_u32 v13, v2, v8
	v_mul_hi_u32 v12, v3, v10
	v_mul_lo_u32 v10, v3, v10
	v_mul_hi_u32 v14, v3, v8
	v_add_co_u32_e32 v9, vcc, v9, v11
	v_addc_co_u32_e32 v11, vcc, 0, v13, vcc
	v_mul_lo_u32 v8, v3, v8
	v_add_co_u32_e32 v9, vcc, v9, v10
	v_addc_co_u32_e32 v9, vcc, v11, v12, vcc
	v_addc_co_u32_e32 v10, vcc, 0, v14, vcc
	v_add_co_u32_e32 v8, vcc, v9, v8
	v_addc_co_u32_e32 v9, vcc, 0, v10, vcc
	v_add_co_u32_e32 v2, vcc, v2, v8
	v_addc_co_u32_e32 v3, vcc, v3, v9, vcc
	v_mul_lo_u32 v8, s0, v3
	v_mul_hi_u32 v9, s0, v2
	v_mul_lo_u32 v10, s1, v2
	v_mul_lo_u32 v11, s0, v2
	v_add_u32_e32 v8, v9, v8
	v_add_u32_e32 v8, v8, v10
	v_mul_lo_u32 v12, v2, v8
	v_mul_hi_u32 v13, v2, v11
	v_mul_hi_u32 v14, v2, v8
	v_mul_hi_u32 v10, v3, v11
	v_mul_lo_u32 v11, v3, v11
	v_mul_hi_u32 v9, v3, v8
	v_add_co_u32_e32 v12, vcc, v13, v12
	v_addc_co_u32_e32 v13, vcc, 0, v14, vcc
	v_mul_lo_u32 v8, v3, v8
	v_add_co_u32_e32 v11, vcc, v12, v11
	v_addc_co_u32_e32 v10, vcc, v13, v10, vcc
	v_addc_co_u32_e32 v9, vcc, 0, v9, vcc
	v_add_co_u32_e32 v8, vcc, v10, v8
	v_addc_co_u32_e32 v9, vcc, 0, v9, vcc
	v_add_co_u32_e32 v8, vcc, v2, v8
	v_addc_co_u32_e32 v9, vcc, v3, v9, vcc
	v_mad_u64_u32 v[2:3], s[0:1], v6, v9, 0
	v_mul_hi_u32 v10, v6, v8
	v_add_co_u32_e32 v10, vcc, v10, v2
	v_addc_co_u32_e32 v11, vcc, 0, v3, vcc
	v_mad_u64_u32 v[2:3], s[0:1], v7, v8, 0
	v_mad_u64_u32 v[8:9], s[0:1], v7, v9, 0
	v_add_co_u32_e32 v2, vcc, v10, v2
	v_addc_co_u32_e32 v2, vcc, v11, v3, vcc
	v_addc_co_u32_e32 v3, vcc, 0, v9, vcc
	v_add_co_u32_e32 v8, vcc, v2, v8
	v_addc_co_u32_e32 v9, vcc, 0, v3, vcc
	v_mul_lo_u32 v10, s25, v8
	v_mul_lo_u32 v11, s24, v9
	v_mad_u64_u32 v[2:3], s[0:1], s24, v8, 0
	v_add3_u32 v3, v3, v11, v10
	v_sub_u32_e32 v10, v7, v3
	v_mov_b32_e32 v11, s25
	v_sub_co_u32_e32 v2, vcc, v6, v2
	v_subb_co_u32_e64 v10, s[0:1], v10, v11, vcc
	v_subrev_co_u32_e64 v11, s[0:1], s24, v2
	v_subbrev_co_u32_e64 v10, s[0:1], 0, v10, s[0:1]
	v_cmp_le_u32_e64 s[0:1], s25, v10
	v_cndmask_b32_e64 v12, 0, -1, s[0:1]
	v_cmp_le_u32_e64 s[0:1], s24, v11
	v_cndmask_b32_e64 v11, 0, -1, s[0:1]
	v_cmp_eq_u32_e64 s[0:1], s25, v10
	v_cndmask_b32_e64 v10, v12, v11, s[0:1]
	v_add_co_u32_e64 v11, s[0:1], 2, v8
	v_addc_co_u32_e64 v12, s[0:1], 0, v9, s[0:1]
	v_add_co_u32_e64 v13, s[0:1], 1, v8
	v_addc_co_u32_e64 v14, s[0:1], 0, v9, s[0:1]
	v_subb_co_u32_e32 v3, vcc, v7, v3, vcc
	v_cmp_ne_u32_e64 s[0:1], 0, v10
	v_cmp_le_u32_e32 vcc, s25, v3
	v_cndmask_b32_e64 v10, v14, v12, s[0:1]
	v_cndmask_b32_e64 v12, 0, -1, vcc
	v_cmp_le_u32_e32 vcc, s24, v2
	v_cndmask_b32_e64 v2, 0, -1, vcc
	v_cmp_eq_u32_e32 vcc, s25, v3
	v_cndmask_b32_e32 v2, v12, v2, vcc
	v_cmp_ne_u32_e32 vcc, 0, v2
	v_cndmask_b32_e64 v2, v13, v11, s[0:1]
	v_cndmask_b32_e32 v63, v9, v10, vcc
	v_cndmask_b32_e32 v62, v8, v2, vcc
.LBB0_4:                                ;   in Loop: Header=BB0_2 Depth=1
	s_andn2_saveexec_b64 s[0:1], s[26:27]
	s_cbranch_execz .LBB0_6
; %bb.5:                                ;   in Loop: Header=BB0_2 Depth=1
	v_cvt_f32_u32_e32 v2, s24
	s_sub_i32 s26, 0, s24
	v_mov_b32_e32 v63, v1
	v_rcp_iflag_f32_e32 v2, v2
	v_mul_f32_e32 v2, 0x4f7ffffe, v2
	v_cvt_u32_f32_e32 v2, v2
	v_mul_lo_u32 v3, s26, v2
	v_mul_hi_u32 v3, v2, v3
	v_add_u32_e32 v2, v2, v3
	v_mul_hi_u32 v2, v6, v2
	v_mul_lo_u32 v3, v2, s24
	v_add_u32_e32 v8, 1, v2
	v_sub_u32_e32 v3, v6, v3
	v_subrev_u32_e32 v9, s24, v3
	v_cmp_le_u32_e32 vcc, s24, v3
	v_cndmask_b32_e32 v3, v3, v9, vcc
	v_cndmask_b32_e32 v2, v2, v8, vcc
	v_add_u32_e32 v8, 1, v2
	v_cmp_le_u32_e32 vcc, s24, v3
	v_cndmask_b32_e32 v62, v2, v8, vcc
.LBB0_6:                                ;   in Loop: Header=BB0_2 Depth=1
	s_or_b64 exec, exec, s[0:1]
	v_mul_lo_u32 v8, v63, s24
	v_mul_lo_u32 v9, v62, s25
	v_mad_u64_u32 v[2:3], s[0:1], v62, s24, 0
	s_load_dwordx2 s[0:1], s[6:7], 0x0
	s_load_dwordx2 s[24:25], s[2:3], 0x0
	v_add3_u32 v3, v3, v9, v8
	v_sub_co_u32_e32 v2, vcc, v6, v2
	v_subb_co_u32_e32 v3, vcc, v7, v3, vcc
	s_waitcnt lgkmcnt(0)
	v_mul_lo_u32 v6, s0, v3
	v_mul_lo_u32 v7, s1, v2
	v_mad_u64_u32 v[4:5], s[0:1], s0, v2, v[4:5]
	v_mul_lo_u32 v3, s24, v3
	v_mul_lo_u32 v8, s25, v2
	v_mad_u64_u32 v[60:61], s[0:1], s24, v2, v[60:61]
	s_add_u32 s22, s22, 1
	s_addc_u32 s23, s23, 0
	s_add_u32 s2, s2, 8
	v_add3_u32 v61, v8, v61, v3
	s_addc_u32 s3, s3, 0
	v_mov_b32_e32 v2, s10
	s_add_u32 s6, s6, 8
	v_mov_b32_e32 v3, s11
	s_addc_u32 s7, s7, 0
	v_cmp_ge_u64_e32 vcc, s[22:23], v[2:3]
	s_add_u32 s20, s20, 8
	v_add3_u32 v5, v7, v5, v6
	s_addc_u32 s21, s21, 0
	s_cbranch_vccnz .LBB0_9
; %bb.7:                                ;   in Loop: Header=BB0_2 Depth=1
	v_mov_b32_e32 v6, v62
	v_mov_b32_e32 v7, v63
	s_branch .LBB0_2
.LBB0_8:
	v_mov_b32_e32 v61, v5
	v_mov_b32_e32 v63, v7
	;; [unrolled: 1-line block ×4, first 2 shown]
.LBB0_9:
	s_load_dwordx2 s[4:5], s[4:5], 0x28
	s_lshl_b64 s[6:7], s[10:11], 3
	s_add_u32 s2, s18, s6
	s_addc_u32 s3, s19, s7
                                        ; implicit-def: $vgpr72
	s_waitcnt lgkmcnt(0)
	v_cmp_gt_u64_e64 s[0:1], s[4:5], v[62:63]
	v_cmp_le_u64_e32 vcc, s[4:5], v[62:63]
	s_and_saveexec_b64 s[4:5], vcc
	s_xor_b64 s[4:5], exec, s[4:5]
; %bb.10:
	s_mov_b32 s10, 0x1f07c20
	v_mul_hi_u32 v1, v0, s10
                                        ; implicit-def: $vgpr4_vgpr5
	v_mul_u32_u24_e32 v1, 0x84, v1
	v_sub_u32_e32 v72, v0, v1
                                        ; implicit-def: $vgpr0
; %bb.11:
	s_or_saveexec_b64 s[4:5], s[4:5]
                                        ; implicit-def: $vgpr34_vgpr35
                                        ; implicit-def: $vgpr42_vgpr43
                                        ; implicit-def: $vgpr2_vgpr3
                                        ; implicit-def: $vgpr6_vgpr7
                                        ; implicit-def: $vgpr26_vgpr27
                                        ; implicit-def: $vgpr22_vgpr23
                                        ; implicit-def: $vgpr30_vgpr31
                                        ; implicit-def: $vgpr18_vgpr19
                                        ; implicit-def: $vgpr14_vgpr15
                                        ; implicit-def: $vgpr38_vgpr39
                                        ; implicit-def: $vgpr10_vgpr11
	s_xor_b64 exec, exec, s[4:5]
	s_cbranch_execz .LBB0_13
; %bb.12:
	s_add_u32 s6, s16, s6
	s_addc_u32 s7, s17, s7
	s_load_dwordx2 s[6:7], s[6:7], 0x0
	s_mov_b32 s10, 0x1f07c20
	v_mul_hi_u32 v3, v0, s10
	s_waitcnt lgkmcnt(0)
	v_mul_lo_u32 v6, s7, v62
	v_mul_lo_u32 v7, s6, v63
	v_mad_u64_u32 v[1:2], s[6:7], s6, v62, 0
	v_mul_u32_u24_e32 v3, 0x84, v3
	v_sub_u32_e32 v72, v0, v3
	v_add3_u32 v2, v2, v7, v6
	v_lshlrev_b64 v[0:1], 4, v[1:2]
	v_mov_b32_e32 v2, s13
	v_add_co_u32_e32 v3, vcc, s12, v0
	v_addc_co_u32_e32 v2, vcc, v2, v1, vcc
	v_lshlrev_b64 v[0:1], 4, v[4:5]
	s_movk_i32 s6, 0x1000
	v_add_co_u32_e32 v0, vcc, v3, v0
	v_addc_co_u32_e32 v1, vcc, v2, v1, vcc
	v_lshlrev_b32_e32 v2, 4, v72
	v_add_co_u32_e32 v0, vcc, v0, v2
	v_addc_co_u32_e32 v1, vcc, 0, v1, vcc
	v_add_co_u32_e32 v44, vcc, s6, v0
	v_addc_co_u32_e32 v45, vcc, 0, v1, vcc
	s_movk_i32 s6, 0x2000
	v_add_co_u32_e32 v46, vcc, s6, v0
	v_addc_co_u32_e32 v47, vcc, 0, v1, vcc
	s_movk_i32 s6, 0x3000
	;; [unrolled: 3-line block ×3, first 2 shown]
	v_add_co_u32_e32 v50, vcc, s6, v0
	v_addc_co_u32_e32 v51, vcc, 0, v1, vcc
	v_add_co_u32_e32 v52, vcc, 0x5000, v0
	global_load_dwordx4 v[8:11], v[0:1], off
	global_load_dwordx4 v[32:35], v[0:1], off offset:2112
	v_addc_co_u32_e32 v53, vcc, 0, v1, vcc
	global_load_dwordx4 v[40:43], v[44:45], off offset:128
	global_load_dwordx4 v[36:39], v[44:45], off offset:2240
	;; [unrolled: 1-line block ×9, first 2 shown]
.LBB0_13:
	s_or_b64 exec, exec, s[4:5]
	s_waitcnt vmcnt(0)
	v_add_f64 v[48:49], v[34:35], -v[22:23]
	s_mov_b32 s22, 0xf8bb580b
	s_mov_b32 s23, 0xbfe14ced
	v_add_f64 v[46:47], v[32:33], v[20:21]
	v_add_f64 v[52:53], v[42:43], -v[26:27]
	s_load_dwordx2 s[4:5], s[2:3], 0x0
	s_mov_b32 s2, 0x8764f0ba
	s_mov_b32 s34, 0x8eee2c13
	v_mul_f64 v[54:55], v[48:49], s[22:23]
	s_mov_b32 s16, 0x43842ef
	s_mov_b32 s18, 0xbb3a28a1
	;; [unrolled: 1-line block ×8, first 2 shown]
	v_add_f64 v[50:51], v[40:41], v[24:25]
	v_mul_f64 v[56:57], v[48:49], s[34:35]
	v_mul_f64 v[58:59], v[48:49], s[16:17]
	;; [unrolled: 1-line block ×5, first 2 shown]
	v_fma_f64 v[73:74], v[46:47], s[2:3], v[54:55]
	v_fma_f64 v[54:55], v[46:47], s[2:3], -v[54:55]
	s_mov_b32 s6, 0xd9c712b6
	s_mov_b32 s10, 0x640f44db
	;; [unrolled: 1-line block ×8, first 2 shown]
	v_mul_f64 v[68:69], v[52:53], s[18:19]
	v_fma_f64 v[75:76], v[46:47], s[6:7], v[56:57]
	v_fma_f64 v[56:57], v[46:47], s[6:7], -v[56:57]
	v_fma_f64 v[77:78], v[46:47], s[10:11], v[58:59]
	v_fma_f64 v[58:59], v[46:47], s[10:11], -v[58:59]
	;; [unrolled: 2-line block ×5, first 2 shown]
	v_add_f64 v[73:74], v[73:74], v[8:9]
	v_add_f64 v[54:55], v[54:55], v[8:9]
	s_mov_b32 s37, 0x3fd207e7
	s_mov_b32 s29, 0x3fefac9e
	;; [unrolled: 1-line block ×4, first 2 shown]
	v_add_f64 v[44:45], v[32:33], v[8:9]
	v_mul_f64 v[70:71], v[52:53], s[36:37]
	v_fma_f64 v[83:84], v[50:51], s[12:13], v[68:69]
	v_add_f64 v[75:76], v[75:76], v[8:9]
	v_add_f64 v[56:57], v[56:57], v[8:9]
	;; [unrolled: 1-line block ×10, first 2 shown]
	v_mul_f64 v[54:55], v[52:53], s[28:29]
	v_add_f64 v[73:74], v[38:39], -v[30:31]
	s_mov_b32 s27, 0x3fe14ced
	s_mov_b32 s26, s22
	v_fma_f64 v[68:69], v[50:51], s[12:13], -v[68:69]
	v_mul_f64 v[52:53], v[52:53], s[26:27]
	v_add_f64 v[66:67], v[83:84], v[75:76]
	v_fma_f64 v[75:76], v[50:51], s[20:21], v[70:71]
	v_fma_f64 v[70:71], v[50:51], s[20:21], -v[70:71]
	v_fma_f64 v[83:84], v[50:51], s[10:11], v[54:55]
	v_fma_f64 v[54:55], v[50:51], s[10:11], -v[54:55]
	v_add_f64 v[85:86], v[28:29], v[36:37]
	v_mul_f64 v[87:88], v[73:74], s[16:17]
	v_add_f64 v[44:45], v[40:41], v[44:45]
	s_mov_b32 s31, 0x3fed1bb4
	s_mov_b32 s30, s34
	v_add_f64 v[56:57], v[68:69], v[56:57]
	v_fma_f64 v[68:69], v[50:51], s[2:3], v[52:53]
	v_add_f64 v[75:76], v[75:76], v[77:78]
	v_add_f64 v[58:59], v[70:71], v[58:59]
	;; [unrolled: 1-line block ×4, first 2 shown]
	v_mul_f64 v[64:65], v[73:74], s[36:37]
	v_fma_f64 v[50:51], v[50:51], s[2:3], -v[52:53]
	v_fma_f64 v[52:53], v[85:86], s[10:11], v[87:88]
	v_fma_f64 v[77:78], v[85:86], s[10:11], -v[87:88]
	v_mul_f64 v[79:80], v[73:74], s[30:31]
	v_add_f64 v[44:45], v[36:37], v[44:45]
	v_add_f64 v[68:69], v[68:69], v[81:82]
	s_movk_i32 s33, 0x58
	v_fma_f64 v[81:82], v[85:86], s[20:21], v[64:65]
	v_fma_f64 v[64:65], v[85:86], s[20:21], -v[64:65]
	v_add_f64 v[8:9], v[50:51], v[8:9]
	v_add_f64 v[46:47], v[52:53], v[46:47]
	;; [unrolled: 1-line block ×3, first 2 shown]
	v_add_f64 v[50:51], v[14:15], -v[18:19]
	v_mul_f64 v[52:53], v[73:74], s[22:23]
	v_fma_f64 v[77:78], v[85:86], s[6:7], v[79:80]
	v_add_f64 v[44:45], v[12:13], v[44:45]
	v_add_f64 v[66:67], v[81:82], v[66:67]
	;; [unrolled: 1-line block ×3, first 2 shown]
	v_mul_f64 v[64:65], v[73:74], s[18:19]
	v_fma_f64 v[73:74], v[85:86], s[6:7], -v[79:80]
	v_add_f64 v[79:80], v[16:17], v[12:13]
	v_mul_f64 v[81:82], v[50:51], s[18:19]
	v_fma_f64 v[83:84], v[85:86], s[2:3], v[52:53]
	v_add_f64 v[75:76], v[77:78], v[75:76]
	v_fma_f64 v[52:53], v[85:86], s[2:3], -v[52:53]
	v_mul_f64 v[77:78], v[50:51], s[28:29]
	v_add_f64 v[44:45], v[0:1], v[44:45]
	v_fma_f64 v[87:88], v[85:86], s[12:13], v[64:65]
	v_fma_f64 v[64:65], v[85:86], s[12:13], -v[64:65]
	v_add_f64 v[58:59], v[73:74], v[58:59]
	v_fma_f64 v[73:74], v[79:80], s[12:13], v[81:82]
	v_fma_f64 v[81:82], v[79:80], s[12:13], -v[81:82]
	v_add_f64 v[52:53], v[52:53], v[54:55]
	v_fma_f64 v[54:55], v[79:80], s[10:11], v[77:78]
	v_add_f64 v[44:45], v[4:5], v[44:45]
	v_add_f64 v[70:71], v[83:84], v[70:71]
	;; [unrolled: 1-line block ×3, first 2 shown]
	v_mul_f64 v[64:65], v[50:51], s[22:23]
	v_add_f64 v[46:47], v[73:74], v[46:47]
	v_mul_f64 v[73:74], v[50:51], s[24:25]
	v_add_f64 v[48:49], v[81:82], v[48:49]
	v_add_f64 v[81:82], v[2:3], -v[6:7]
	v_add_f64 v[54:55], v[54:55], v[66:67]
	v_fma_f64 v[66:67], v[79:80], s[10:11], -v[77:78]
	v_mul_f64 v[50:51], v[50:51], s[30:31]
	v_add_f64 v[44:45], v[16:17], v[44:45]
	v_add_f64 v[68:69], v[87:88], v[68:69]
	v_fma_f64 v[77:78], v[79:80], s[2:3], v[64:65]
	v_fma_f64 v[64:65], v[79:80], s[2:3], -v[64:65]
	v_fma_f64 v[83:84], v[79:80], s[20:21], v[73:74]
	v_add_f64 v[85:86], v[0:1], v[4:5]
	v_mul_f64 v[87:88], v[81:82], s[24:25]
	v_fma_f64 v[73:74], v[79:80], s[20:21], -v[73:74]
	v_add_f64 v[56:57], v[66:67], v[56:57]
	v_fma_f64 v[66:67], v[79:80], s[6:7], v[50:51]
	v_fma_f64 v[50:51], v[79:80], s[6:7], -v[50:51]
	v_add_f64 v[44:45], v[28:29], v[44:45]
	v_add_f64 v[58:59], v[64:65], v[58:59]
	;; [unrolled: 1-line block ×3, first 2 shown]
	v_fma_f64 v[64:65], v[85:86], s[20:21], v[87:88]
	v_add_f64 v[52:53], v[73:74], v[52:53]
	v_mul_f64 v[73:74], v[81:82], s[26:27]
	v_add_f64 v[66:67], v[66:67], v[68:69]
	v_mul_f64 v[68:69], v[81:82], s[18:19]
	v_mul_f64 v[77:78], v[81:82], s[30:31]
	v_add_f64 v[8:9], v[50:51], v[8:9]
	v_mul_f64 v[50:51], v[81:82], s[16:17]
	v_add_f64 v[44:45], v[24:25], v[44:45]
	v_add_f64 v[46:47], v[64:65], v[46:47]
	v_fma_f64 v[64:65], v[85:86], s[2:3], v[73:74]
	v_fma_f64 v[73:74], v[85:86], s[2:3], -v[73:74]
	v_fma_f64 v[81:82], v[85:86], s[12:13], v[68:69]
	v_add_f64 v[70:71], v[83:84], v[70:71]
	v_fma_f64 v[79:80], v[85:86], s[20:21], -v[87:88]
	v_fma_f64 v[83:84], v[85:86], s[6:7], v[77:78]
	v_fma_f64 v[87:88], v[85:86], s[10:11], v[50:51]
	v_fma_f64 v[77:78], v[85:86], s[6:7], -v[77:78]
	v_fma_f64 v[50:51], v[85:86], s[10:11], -v[50:51]
	;; [unrolled: 1-line block ×3, first 2 shown]
	v_add_f64 v[44:45], v[20:21], v[44:45]
	v_add_f64 v[54:55], v[64:65], v[54:55]
	;; [unrolled: 1-line block ×10, first 2 shown]
	v_mad_u32_u24 v8, v72, s33, 0
	s_movk_i32 s38, 0xffb0
	ds_write2_b64 v8, v[44:45], v[46:47] offset1:1
	ds_write2_b64 v8, v[54:55], v[56:57] offset0:2 offset1:3
	ds_write2_b64 v8, v[70:71], v[73:74] offset0:4 offset1:5
	;; [unrolled: 1-line block ×4, first 2 shown]
	ds_write_b64 v8, v[66:67] offset:80
	v_mad_i32_i24 v73, v72, s38, v8
	v_add_u32_e32 v9, 0x800, v73
	v_add_u32_e32 v74, 0x1c00, v73
	v_add_u32_e32 v75, 0x1000, v73
	s_waitcnt lgkmcnt(0)
	s_barrier
	ds_read2_b64 v[44:47], v73 offset1:132
	ds_read2_b64 v[48:51], v9 offset0:8 offset1:228
	ds_read2_b64 v[52:55], v74 offset0:72 offset1:204
	;; [unrolled: 1-line block ×3, first 2 shown]
	ds_read_b64 v[68:69], v73 offset:9856
	v_cmp_gt_u32_e32 vcc, s33, v72
                                        ; implicit-def: $vgpr70_vgpr71
	s_and_saveexec_b64 s[38:39], vcc
	s_cbranch_execz .LBB0_15
; %bb.14:
	ds_read_b64 v[64:65], v73 offset:3168
	ds_read_b64 v[66:67], v73 offset:7040
	;; [unrolled: 1-line block ×3, first 2 shown]
.LBB0_15:
	s_or_b64 exec, exec, s[38:39]
	v_add_f64 v[76:77], v[34:35], v[10:11]
	v_add_f64 v[28:29], v[36:37], -v[28:29]
	v_add_f64 v[20:21], v[32:33], -v[20:21]
	v_add_f64 v[32:33], v[34:35], v[22:23]
	v_add_f64 v[34:35], v[42:43], v[26:27]
	v_add_f64 v[24:25], v[40:41], -v[24:25]
	v_add_f64 v[40:41], v[30:31], v[38:39]
	v_add_f64 v[12:13], v[12:13], -v[16:17]
	v_add_f64 v[36:37], v[42:43], v[76:77]
	v_mul_f64 v[88:89], v[28:29], s[16:17]
	v_mul_f64 v[42:43], v[20:21], s[22:23]
	;; [unrolled: 1-line block ×7, first 2 shown]
	v_add_f64 v[36:37], v[38:39], v[36:37]
	v_mul_f64 v[84:85], v[24:25], s[18:19]
	v_mul_f64 v[86:87], v[24:25], s[36:37]
	v_fma_f64 v[94:95], v[32:33], s[2:3], -v[42:43]
	v_fma_f64 v[42:43], v[32:33], s[2:3], v[42:43]
	v_fma_f64 v[96:97], v[32:33], s[6:7], -v[76:77]
	v_fma_f64 v[76:77], v[32:33], s[6:7], v[76:77]
	v_fma_f64 v[98:99], v[32:33], s[10:11], -v[78:79]
	v_add_f64 v[36:37], v[14:15], v[36:37]
	v_mul_f64 v[38:39], v[24:25], s[28:29]
	v_mul_f64 v[24:25], v[24:25], s[26:27]
	;; [unrolled: 1-line block ×4, first 2 shown]
	v_fma_f64 v[78:79], v[32:33], s[10:11], v[78:79]
	v_fma_f64 v[100:101], v[32:33], s[12:13], -v[80:81]
	v_fma_f64 v[80:81], v[32:33], s[12:13], v[80:81]
	v_add_f64 v[36:37], v[2:3], v[36:37]
	v_fma_f64 v[102:103], v[32:33], s[20:21], -v[20:21]
	v_fma_f64 v[20:21], v[32:33], s[20:21], v[20:21]
	v_fma_f64 v[32:33], v[34:35], s[6:7], -v[82:83]
	v_fma_f64 v[82:83], v[34:35], s[6:7], v[82:83]
	;; [unrolled: 2-line block ×3, first 2 shown]
	v_fma_f64 v[106:107], v[34:35], s[20:21], -v[86:87]
	v_add_f64 v[36:37], v[6:7], v[36:37]
	v_add_f64 v[94:95], v[94:95], v[10:11]
	;; [unrolled: 1-line block ×6, first 2 shown]
	v_fma_f64 v[86:87], v[34:35], s[20:21], v[86:87]
	v_fma_f64 v[108:109], v[34:35], s[10:11], -v[38:39]
	v_add_f64 v[36:37], v[18:19], v[36:37]
	v_fma_f64 v[38:39], v[34:35], s[10:11], v[38:39]
	v_fma_f64 v[110:111], v[34:35], s[2:3], -v[24:25]
	v_fma_f64 v[24:25], v[34:35], s[2:3], v[24:25]
	v_fma_f64 v[34:35], v[40:41], s[10:11], -v[88:89]
	;; [unrolled: 2-line block ×3, first 2 shown]
	v_add_f64 v[78:79], v[78:79], v[10:11]
	v_add_f64 v[30:31], v[30:31], v[36:37]
	;; [unrolled: 1-line block ×12, first 2 shown]
	v_mul_f64 v[16:17], v[28:29], s[22:23]
	v_mul_f64 v[28:29], v[28:29], s[18:19]
	v_add_f64 v[78:79], v[86:87], v[78:79]
	v_add_f64 v[36:37], v[108:109], v[36:37]
	;; [unrolled: 1-line block ×4, first 2 shown]
	v_fma_f64 v[26:27], v[40:41], s[6:7], -v[92:93]
	v_add_f64 v[20:21], v[34:35], v[20:21]
	v_add_f64 v[24:25], v[88:89], v[32:33]
	;; [unrolled: 1-line block ×3, first 2 shown]
	v_fma_f64 v[34:35], v[40:41], s[6:7], v[92:93]
	v_add_f64 v[14:15], v[18:19], v[14:15]
	v_mul_f64 v[18:19], v[12:13], s[18:19]
	v_fma_f64 v[42:43], v[40:41], s[2:3], -v[16:17]
	v_add_f64 v[26:27], v[26:27], v[76:77]
	v_mul_f64 v[76:77], v[12:13], s[28:29]
	v_fma_f64 v[82:83], v[40:41], s[12:13], -v[28:29]
	v_fma_f64 v[28:29], v[40:41], s[12:13], v[28:29]
	v_fma_f64 v[90:91], v[40:41], s[20:21], v[90:91]
	v_add_f64 v[38:39], v[38:39], v[80:81]
	v_fma_f64 v[16:17], v[40:41], s[2:3], v[16:17]
	v_add_f64 v[34:35], v[34:35], v[78:79]
	v_fma_f64 v[40:41], v[14:15], s[12:13], -v[18:19]
	v_add_f64 v[36:37], v[42:43], v[36:37]
	v_fma_f64 v[18:19], v[14:15], s[12:13], v[18:19]
	v_fma_f64 v[42:43], v[14:15], s[10:11], -v[76:77]
	v_mul_f64 v[78:79], v[12:13], s[22:23]
	v_add_f64 v[10:11], v[28:29], v[10:11]
	v_mul_f64 v[28:29], v[12:13], s[24:25]
	v_add_f64 v[0:1], v[0:1], -v[4:5]
	v_add_f64 v[80:81], v[110:111], v[100:101]
	v_add_f64 v[30:31], v[90:91], v[30:31]
	v_fma_f64 v[4:5], v[14:15], s[10:11], v[76:77]
	v_mul_f64 v[12:13], v[12:13], s[30:31]
	v_add_f64 v[16:17], v[16:17], v[38:39]
	v_add_f64 v[20:21], v[40:41], v[20:21]
	;; [unrolled: 1-line block ×4, first 2 shown]
	v_fma_f64 v[32:33], v[14:15], s[2:3], -v[78:79]
	v_fma_f64 v[40:41], v[14:15], s[2:3], v[78:79]
	v_fma_f64 v[42:43], v[14:15], s[20:21], -v[28:29]
	v_fma_f64 v[28:29], v[14:15], s[20:21], v[28:29]
	v_add_f64 v[2:3], v[2:3], v[6:7]
	v_mul_f64 v[6:7], v[0:1], s[24:25]
	v_add_f64 v[38:39], v[82:83], v[80:81]
	v_add_f64 v[4:5], v[4:5], v[30:31]
	v_fma_f64 v[30:31], v[14:15], s[6:7], -v[12:13]
	v_add_f64 v[26:27], v[32:33], v[26:27]
	v_add_f64 v[32:33], v[40:41], v[34:35]
	;; [unrolled: 1-line block ×3, first 2 shown]
	v_fma_f64 v[12:13], v[14:15], s[6:7], v[12:13]
	v_add_f64 v[14:15], v[28:29], v[16:17]
	v_fma_f64 v[16:17], v[2:3], s[20:21], -v[6:7]
	v_fma_f64 v[6:7], v[2:3], s[20:21], v[6:7]
	v_mul_f64 v[28:29], v[0:1], s[26:27]
	v_mul_f64 v[36:37], v[0:1], s[18:19]
	v_add_f64 v[30:31], v[30:31], v[38:39]
	v_mul_f64 v[38:39], v[0:1], s[30:31]
	v_mul_f64 v[0:1], v[0:1], s[16:17]
	v_add_f64 v[10:11], v[12:13], v[10:11]
	v_add_f64 v[12:13], v[16:17], v[20:21]
	;; [unrolled: 1-line block ×3, first 2 shown]
	v_fma_f64 v[6:7], v[2:3], s[2:3], -v[28:29]
	v_fma_f64 v[16:17], v[2:3], s[2:3], v[28:29]
	v_fma_f64 v[20:21], v[2:3], s[12:13], -v[36:37]
	v_fma_f64 v[28:29], v[2:3], s[6:7], -v[38:39]
	;; [unrolled: 1-line block ×3, first 2 shown]
	v_fma_f64 v[38:39], v[2:3], s[6:7], v[38:39]
	v_fma_f64 v[0:1], v[2:3], s[10:11], v[0:1]
	;; [unrolled: 1-line block ×3, first 2 shown]
	v_add_f64 v[6:7], v[6:7], v[24:25]
	v_add_f64 v[16:17], v[16:17], v[4:5]
	;; [unrolled: 1-line block ×8, first 2 shown]
	s_waitcnt lgkmcnt(0)
	s_barrier
	ds_write2_b64 v8, v[22:23], v[12:13] offset1:1
	ds_write2_b64 v8, v[6:7], v[4:5] offset0:2 offset1:3
	ds_write2_b64 v8, v[20:21], v[24:25] offset0:4 offset1:5
	;; [unrolled: 1-line block ×4, first 2 shown]
	ds_write_b64 v8, v[18:19] offset:80
	s_waitcnt lgkmcnt(0)
	s_barrier
	ds_read2_b64 v[4:7], v73 offset1:132
	ds_read2_b64 v[0:3], v9 offset0:8 offset1:228
	ds_read2_b64 v[8:11], v74 offset0:72 offset1:204
	;; [unrolled: 1-line block ×3, first 2 shown]
	ds_read_b64 v[20:21], v73 offset:9856
                                        ; implicit-def: $vgpr22_vgpr23
	s_and_saveexec_b64 s[2:3], vcc
	s_cbranch_execz .LBB0_17
; %bb.16:
	ds_read_b64 v[16:17], v73 offset:3168
	ds_read_b64 v[18:19], v73 offset:7040
	;; [unrolled: 1-line block ×3, first 2 shown]
.LBB0_17:
	s_or_b64 exec, exec, s[2:3]
	s_movk_i32 s2, 0x75
	v_mul_lo_u16_sdwa v24, v72, s2 dst_sel:DWORD dst_unused:UNUSED_PAD src0_sel:BYTE_0 src1_sel:DWORD
	v_sub_u16_sdwa v25, v72, v24 dst_sel:DWORD dst_unused:UNUSED_PAD src0_sel:DWORD src1_sel:BYTE_1
	v_lshrrev_b16_e32 v25, 1, v25
	v_and_b32_e32 v25, 0x7f, v25
	v_add_u32_e32 v75, 0x84, v72
	v_add_u16_sdwa v24, v25, v24 dst_sel:DWORD dst_unused:UNUSED_PAD src0_sel:DWORD src1_sel:BYTE_1
	s_mov_b32 s2, 0xba2f
	v_lshrrev_b16_e32 v37, 3, v24
	v_mul_u32_u24_sdwa v24, v75, s2 dst_sel:DWORD dst_unused:UNUSED_PAD src0_sel:WORD_0 src1_sel:DWORD
	v_lshrrev_b32_e32 v39, 19, v24
	v_mul_lo_u16_e32 v24, 11, v39
	v_sub_u16_e32 v76, v75, v24
	v_add_u32_e32 v74, 0x108, v72
	v_lshlrev_b32_e32 v32, 5, v76
	global_load_dwordx4 v[24:27], v32, s[8:9] offset:16
	global_load_dwordx4 v[28:31], v32, s[8:9]
	v_mul_u32_u24_sdwa v32, v74, s2 dst_sel:DWORD dst_unused:UNUSED_PAD src0_sel:WORD_0 src1_sel:DWORD
	v_lshrrev_b32_e32 v77, 19, v32
	v_mul_lo_u16_e32 v32, 11, v77
	v_sub_u16_e32 v78, v74, v32
	v_add_u32_e32 v36, 0x18c, v72
	v_lshlrev_b32_e32 v79, 5, v78
	global_load_dwordx4 v[32:35], v79, s[8:9] offset:16
	global_load_dwordx4 v[40:43], v79, s[8:9]
	v_mul_u32_u24_sdwa v79, v36, s2 dst_sel:DWORD dst_unused:UNUSED_PAD src0_sel:WORD_0 src1_sel:DWORD
	v_lshrrev_b32_e32 v79, 19, v79
	v_mul_lo_u16_e32 v80, 11, v79
	v_sub_u16_e32 v112, v36, v80
	v_mul_lo_u16_e32 v38, 11, v37
	v_lshlrev_b32_e32 v36, 5, v112
	global_load_dwordx4 v[80:83], v36, s[8:9] offset:16
	global_load_dwordx4 v[84:87], v36, s[8:9]
	v_sub_u16_e32 v36, v72, v38
	v_mov_b32_e32 v38, 5
	v_lshlrev_b32_sdwa v38, v38, v36 dst_sel:DWORD dst_unused:UNUSED_PAD src0_sel:DWORD src1_sel:BYTE_0
	global_load_dwordx4 v[88:91], v38, s[8:9]
	global_load_dwordx4 v[92:95], v38, s[8:9] offset:16
	v_mov_b32_e32 v38, 3
	v_mul_u32_u24_e32 v39, 0x108, v39
	v_mul_u32_u24_e32 v96, 0x108, v77
	v_lshlrev_b32_e32 v76, 3, v76
	v_lshlrev_b32_e32 v78, 3, v78
	v_mul_lo_u16_e32 v77, 33, v79
	v_add3_u32 v79, 0, v39, v76
	v_add3_u32 v78, 0, v96, v78
	v_mul_u32_u24_e32 v76, 0x108, v37
	v_lshlrev_b32_sdwa v113, v38, v36 dst_sel:DWORD dst_unused:UNUSED_PAD src0_sel:DWORD src1_sel:BYTE_0
	s_mov_b32 s6, 0xe8584caa
	s_mov_b32 s7, 0xbfebb67a
	;; [unrolled: 1-line block ×4, first 2 shown]
	s_waitcnt vmcnt(0) lgkmcnt(0)
	s_barrier
	v_mul_f64 v[96:97], v[10:11], v[26:27]
	v_mul_f64 v[36:37], v[12:13], v[30:31]
	;; [unrolled: 1-line block ×8, first 2 shown]
	v_fma_f64 v[34:35], v[56:57], v[28:29], v[36:37]
	v_fma_f64 v[38:39], v[12:13], v[28:29], -v[30:31]
	v_fma_f64 v[36:37], v[54:55], v[24:25], v[96:97]
	v_mul_f64 v[106:107], v[22:23], v[82:83]
	v_mul_f64 v[104:105], v[18:19], v[86:87]
	;; [unrolled: 1-line block ×8, first 2 shown]
	v_fma_f64 v[10:11], v[10:11], v[24:25], -v[26:27]
	v_fma_f64 v[26:27], v[58:59], v[40:41], v[98:99]
	v_fma_f64 v[28:29], v[14:15], v[40:41], -v[42:43]
	v_fma_f64 v[30:31], v[68:69], v[32:33], v[100:101]
	;; [unrolled: 2-line block ×3, first 2 shown]
	v_fma_f64 v[40:41], v[50:51], v[88:89], v[108:109]
	v_fma_f64 v[42:43], v[52:53], v[92:93], v[110:111]
	;; [unrolled: 1-line block ×3, first 2 shown]
	v_fma_f64 v[18:19], v[18:19], v[84:85], -v[86:87]
	v_fma_f64 v[24:25], v[22:23], v[80:81], -v[82:83]
	;; [unrolled: 1-line block ×4, first 2 shown]
	v_add_f64 v[32:33], v[46:47], v[34:35]
	v_add_f64 v[50:51], v[34:35], v[36:37]
	;; [unrolled: 1-line block ×6, first 2 shown]
	v_add_f64 v[58:59], v[28:29], -v[12:13]
	v_add_f64 v[68:69], v[44:45], v[40:41]
	v_add_f64 v[70:71], v[22:23], -v[2:3]
	v_fma_f64 v[46:47], v[50:51], -0.5, v[46:47]
	v_fma_f64 v[80:81], v[8:9], -0.5, v[44:45]
	v_add_f64 v[8:9], v[18:19], -v[24:25]
	v_add_f64 v[50:51], v[32:33], v[36:37]
	v_fma_f64 v[32:33], v[56:57], -0.5, v[48:49]
	v_fma_f64 v[44:45], v[66:67], -0.5, v[64:65]
	v_add_f64 v[52:53], v[38:39], -v[10:11]
	v_add_f64 v[48:49], v[54:55], v[30:31]
	v_add_f64 v[54:55], v[68:69], v[42:43]
	v_fma_f64 v[56:57], v[70:71], s[6:7], v[80:81]
	v_fma_f64 v[66:67], v[70:71], s[2:3], v[80:81]
	;; [unrolled: 1-line block ×7, first 2 shown]
	v_add3_u32 v47, 0, v76, v113
	v_lshlrev_b32_e32 v46, 3, v112
	ds_write2_b64 v47, v[54:55], v[56:57] offset1:11
	ds_write_b64 v47, v[66:67] offset:176
	ds_write2_b64 v79, v[50:51], v[68:69] offset1:11
	ds_write_b64 v79, v[52:53] offset:176
	ds_write2_b64 v78, v[48:49], v[70:71] offset1:11
	ds_write_b64 v78, v[58:59] offset:176
	s_and_saveexec_b64 s[10:11], vcc
	s_cbranch_execz .LBB0_19
; %bb.18:
	v_mul_f64 v[8:9], v[8:9], s[2:3]
	v_add_f64 v[48:49], v[64:65], v[14:15]
	v_add_f64 v[8:9], v[44:45], -v[8:9]
	v_add_f64 v[44:45], v[48:49], v[20:21]
	v_lshlrev_b32_e32 v48, 3, v77
	v_add3_u32 v48, 0, v46, v48
	ds_write2_b64 v48, v[44:45], v[8:9] offset1:11
	ds_write_b64 v48, v[32:33] offset:176
.LBB0_19:
	s_or_b64 exec, exec, s[10:11]
	v_add_f64 v[8:9], v[22:23], v[2:3]
	v_add_f64 v[40:41], v[40:41], -v[42:43]
	v_add_f64 v[42:43], v[38:39], v[10:11]
	v_add_f64 v[44:45], v[18:19], v[24:25]
	v_add_f64 v[34:35], v[34:35], -v[36:37]
	v_add_f64 v[36:37], v[28:29], v[12:13]
	v_add_f64 v[22:23], v[4:5], v[22:23]
	v_add_f64 v[38:39], v[6:7], v[38:39]
	v_fma_f64 v[4:5], v[8:9], -0.5, v[4:5]
	v_add_f64 v[8:9], v[0:1], v[28:29]
	v_add_f64 v[30:31], v[26:27], -v[30:31]
	v_fma_f64 v[6:7], v[42:43], -0.5, v[6:7]
	v_add_f64 v[26:27], v[14:15], -v[20:21]
	v_fma_f64 v[28:29], v[44:45], -0.5, v[16:17]
	v_fma_f64 v[0:1], v[36:37], -0.5, v[0:1]
	v_add_f64 v[42:43], v[22:23], v[2:3]
	v_fma_f64 v[44:45], v[40:41], s[2:3], v[4:5]
	v_fma_f64 v[40:41], v[40:41], s[6:7], v[4:5]
	v_add_f64 v[48:49], v[38:39], v[10:11]
	v_fma_f64 v[50:51], v[34:35], s[2:3], v[6:7]
	v_fma_f64 v[52:53], v[34:35], s[6:7], v[6:7]
	;; [unrolled: 1-line block ×5, first 2 shown]
	v_add_u32_e32 v31, 0x1000, v73
	v_add_u32_e32 v38, 0x1800, v73
	;; [unrolled: 1-line block ×3, first 2 shown]
	v_add_f64 v[54:55], v[8:9], v[12:13]
	s_waitcnt lgkmcnt(0)
	s_barrier
	ds_read2_b64 v[0:3], v73 offset1:132
	ds_read_b64 v[20:21], v73 offset:2112
	v_lshl_add_u32 v30, v72, 3, 0
	ds_read2_b64 v[12:15], v31 offset0:16 offset1:148
	ds_read2_b64 v[8:11], v38 offset0:24 offset1:156
	;; [unrolled: 1-line block ×3, first 2 shown]
	ds_read_b64 v[22:23], v30 offset:3168
	ds_read_b64 v[36:37], v73 offset:10560
	s_waitcnt lgkmcnt(0)
	s_barrier
	ds_write2_b64 v47, v[42:43], v[44:45] offset1:11
	ds_write_b64 v47, v[40:41] offset:176
	ds_write2_b64 v79, v[48:49], v[50:51] offset1:11
	ds_write_b64 v79, v[52:53] offset:176
	;; [unrolled: 2-line block ×3, first 2 shown]
	s_and_saveexec_b64 s[6:7], vcc
	s_cbranch_execz .LBB0_21
; %bb.20:
	v_add_f64 v[16:17], v[16:17], v[18:19]
	v_mul_f64 v[18:19], v[26:27], s[2:3]
	v_add_f64 v[16:17], v[16:17], v[24:25]
	v_add_f64 v[18:19], v[18:19], v[28:29]
	v_lshlrev_b32_e32 v24, 3, v77
	v_add3_u32 v24, 0, v46, v24
	ds_write2_b64 v24, v[16:17], v[18:19] offset1:11
	ds_write_b64 v24, v[34:35] offset:176
.LBB0_21:
	s_or_b64 exec, exec, s[6:7]
	s_movk_i32 s2, 0xf9
	v_mul_lo_u16_sdwa v16, v72, s2 dst_sel:DWORD dst_unused:UNUSED_PAD src0_sel:BYTE_0 src1_sel:DWORD
	v_lshrrev_b16_e32 v77, 13, v16
	v_mul_lo_u16_e32 v16, 33, v77
	v_sub_u16_e32 v78, v72, v16
	v_mov_b32_e32 v16, 10
	v_mul_u32_u24_sdwa v16, v78, v16 dst_sel:DWORD dst_unused:UNUSED_PAD src0_sel:BYTE_0 src1_sel:DWORD
	v_lshlrev_b32_e32 v16, 4, v16
	s_waitcnt lgkmcnt(0)
	s_barrier
	global_load_dwordx4 v[24:27], v16, s[8:9] offset:352
	global_load_dwordx4 v[39:42], v16, s[8:9] offset:368
	;; [unrolled: 1-line block ×10, first 2 shown]
	ds_read2_b64 v[16:19], v73 offset1:132
	ds_read_b64 v[28:29], v73 offset:2112
	ds_read2_b64 v[95:98], v31 offset0:16 offset1:148
	ds_read2_b64 v[99:102], v38 offset0:24 offset1:156
	;; [unrolled: 1-line block ×3, first 2 shown]
	ds_read_b64 v[30:31], v30 offset:3168
	ds_read_b64 v[70:71], v73 offset:10560
	s_mov_b32 s6, 0xf8bb580b
	s_mov_b32 s10, 0x8eee2c13
	;; [unrolled: 1-line block ×26, first 2 shown]
	s_waitcnt vmcnt(0) lgkmcnt(0)
	s_barrier
	s_movk_i32 s2, 0x63
	v_cmp_gt_u32_e64 s[2:3], s2, v72
	v_mul_f64 v[51:52], v[18:19], v[26:27]
	v_mul_f64 v[26:27], v[2:3], v[26:27]
	;; [unrolled: 1-line block ×9, first 2 shown]
	v_fma_f64 v[66:67], v[2:3], v[24:25], v[51:52]
	v_mul_f64 v[2:3], v[6:7], v[89:90]
	v_mul_f64 v[89:90], v[70:71], v[93:94]
	;; [unrolled: 1-line block ×8, first 2 shown]
	v_fma_f64 v[68:69], v[18:19], v[24:25], -v[26:27]
	v_fma_f64 v[58:59], v[20:21], v[39:40], v[53:54]
	v_fma_f64 v[54:55], v[22:23], v[43:44], v[107:108]
	v_fma_f64 v[50:51], v[30:31], v[43:44], -v[45:46]
	v_fma_f64 v[44:45], v[70:71], v[91:92], -v[93:94]
	v_mul_f64 v[121:122], v[101:102], v[81:82]
	v_mul_f64 v[85:86], v[4:5], v[85:86]
	v_fma_f64 v[52:53], v[28:29], v[39:40], -v[41:42]
	v_fma_f64 v[26:27], v[12:13], v[47:48], v[109:110]
	v_fma_f64 v[30:31], v[95:96], v[47:48], -v[111:112]
	v_fma_f64 v[18:19], v[14:15], v[56:57], v[113:114]
	;; [unrolled: 2-line block ×4, first 2 shown]
	v_add_f64 v[4:5], v[68:69], -v[44:45]
	v_mul_f64 v[81:82], v[10:11], v[81:82]
	v_fma_f64 v[20:21], v[8:9], v[64:65], v[117:118]
	v_fma_f64 v[24:25], v[99:100], v[64:65], -v[119:120]
	v_fma_f64 v[28:29], v[10:11], v[79:80], v[121:122]
	v_fma_f64 v[64:65], v[6:7], v[87:88], v[125:126]
	v_fma_f64 v[48:49], v[103:104], v[83:84], -v[85:86]
	v_add_f64 v[6:7], v[66:67], v[70:71]
	v_add_f64 v[10:11], v[52:53], -v[46:47]
	v_mul_f64 v[38:39], v[4:5], s[6:7]
	v_mul_f64 v[40:41], v[4:5], s[10:11]
	v_add_f64 v[2:3], v[0:1], v[66:67]
	v_fma_f64 v[42:43], v[101:102], v[79:80], -v[81:82]
	v_add_f64 v[8:9], v[58:59], v[64:65]
	v_add_f64 v[14:15], v[50:51], -v[48:49]
	v_mul_f64 v[79:80], v[4:5], s[12:13]
	v_mul_f64 v[81:82], v[4:5], s[20:21]
	v_mul_f64 v[4:5], v[4:5], s[26:27]
	v_mul_f64 v[83:84], v[10:11], s[10:11]
	v_mul_f64 v[85:86], v[10:11], s[20:21]
	v_fma_f64 v[99:100], v[6:7], s[16:17], v[38:39]
	v_fma_f64 v[38:39], v[6:7], s[16:17], -v[38:39]
	v_fma_f64 v[101:102], v[6:7], s[18:19], v[40:41]
	v_fma_f64 v[40:41], v[6:7], s[18:19], -v[40:41]
	v_add_f64 v[2:3], v[2:3], v[58:59]
	v_add_f64 v[12:13], v[54:55], v[56:57]
	v_mul_f64 v[87:88], v[10:11], s[36:37]
	v_mul_f64 v[89:90], v[10:11], s[28:29]
	;; [unrolled: 1-line block ×5, first 2 shown]
	v_fma_f64 v[103:104], v[6:7], s[22:23], v[79:80]
	v_fma_f64 v[79:80], v[6:7], s[22:23], -v[79:80]
	v_fma_f64 v[105:106], v[6:7], s[24:25], v[81:82]
	v_fma_f64 v[81:82], v[6:7], s[24:25], -v[81:82]
	;; [unrolled: 2-line block ×5, first 2 shown]
	v_add_f64 v[99:100], v[0:1], v[99:100]
	v_add_f64 v[38:39], v[0:1], v[38:39]
	;; [unrolled: 1-line block ×5, first 2 shown]
	v_add_f64 v[36:37], v[30:31], -v[42:43]
	v_mul_f64 v[95:96], v[14:15], s[38:39]
	v_mul_f64 v[97:98], v[14:15], s[6:7]
	v_fma_f64 v[111:112], v[8:9], s[30:31], v[87:88]
	v_fma_f64 v[87:88], v[8:9], s[30:31], -v[87:88]
	v_fma_f64 v[113:114], v[8:9], s[22:23], v[89:90]
	v_fma_f64 v[89:90], v[8:9], s[22:23], -v[89:90]
	;; [unrolled: 2-line block ×5, first 2 shown]
	v_add_f64 v[103:104], v[0:1], v[103:104]
	v_add_f64 v[79:80], v[0:1], v[79:80]
	;; [unrolled: 1-line block ×19, first 2 shown]
	v_mul_f64 v[14:15], v[14:15], s[20:21]
	v_fma_f64 v[38:39], v[12:13], s[18:19], -v[95:96]
	v_add_f64 v[40:41], v[26:27], v[28:29]
	v_mul_f64 v[89:90], v[36:37], s[20:21]
	v_fma_f64 v[91:92], v[12:13], s[16:17], v[97:98]
	v_add_f64 v[2:3], v[2:3], v[18:19]
	v_fma_f64 v[119:120], v[12:13], s[18:19], v[95:96]
	v_fma_f64 v[93:94], v[12:13], s[16:17], -v[97:98]
	v_mul_f64 v[95:96], v[36:37], s[28:29]
	v_fma_f64 v[97:98], v[12:13], s[24:25], v[14:15]
	v_add_f64 v[38:39], v[38:39], v[79:80]
	v_fma_f64 v[12:13], v[12:13], s[24:25], -v[14:15]
	v_fma_f64 v[14:15], v[40:41], s[24:25], v[89:90]
	v_add_f64 v[79:80], v[91:92], v[85:86]
	v_fma_f64 v[85:86], v[40:41], s[24:25], -v[89:90]
	v_add_f64 v[2:3], v[2:3], v[20:21]
	v_add_f64 v[83:84], v[111:112], v[103:104]
	;; [unrolled: 1-line block ×3, first 2 shown]
	v_fma_f64 v[89:90], v[40:41], s[22:23], v[95:96]
	v_mul_f64 v[91:92], v[36:37], s[6:7]
	v_add_f64 v[0:1], v[12:13], v[0:1]
	v_add_f64 v[4:5], v[14:15], v[4:5]
	v_mul_f64 v[12:13], v[36:37], s[26:27]
	v_add_f64 v[6:7], v[85:86], v[6:7]
	v_add_f64 v[14:15], v[22:23], -v[24:25]
	v_fma_f64 v[85:86], v[40:41], s[22:23], -v[95:96]
	v_mul_f64 v[36:37], v[36:37], s[38:39]
	v_add_f64 v[2:3], v[2:3], v[28:29]
	v_add_f64 v[83:84], v[119:120], v[83:84]
	;; [unrolled: 1-line block ×5, first 2 shown]
	v_fma_f64 v[89:90], v[40:41], s[16:17], v[91:92]
	v_fma_f64 v[91:92], v[40:41], s[16:17], -v[91:92]
	v_fma_f64 v[93:94], v[40:41], s[30:31], v[12:13]
	v_add_f64 v[95:96], v[18:19], v[20:21]
	v_mul_f64 v[97:98], v[14:15], s[26:27]
	v_fma_f64 v[12:13], v[40:41], s[30:31], -v[12:13]
	v_add_f64 v[10:11], v[85:86], v[10:11]
	v_fma_f64 v[85:86], v[40:41], s[18:19], v[36:37]
	v_fma_f64 v[36:37], v[40:41], s[18:19], -v[36:37]
	v_add_f64 v[2:3], v[2:3], v[56:57]
	v_add_f64 v[83:84], v[89:90], v[83:84]
	;; [unrolled: 1-line block ×3, first 2 shown]
	v_fma_f64 v[38:39], v[95:96], s[30:31], v[97:98]
	v_add_f64 v[12:13], v[12:13], v[81:82]
	v_fma_f64 v[40:41], v[95:96], s[30:31], -v[97:98]
	v_mul_f64 v[81:82], v[14:15], s[34:35]
	v_add_f64 v[85:86], v[85:86], v[87:88]
	v_mul_f64 v[87:88], v[14:15], s[20:21]
	v_add_f64 v[0:1], v[36:37], v[0:1]
	v_mul_f64 v[36:37], v[14:15], s[38:39]
	v_mul_f64 v[14:15], v[14:15], s[12:13]
	v_add_f64 v[2:3], v[2:3], v[64:65]
	v_add_f64 v[4:5], v[38:39], v[4:5]
	;; [unrolled: 1-line block ×3, first 2 shown]
	v_fma_f64 v[6:7], v[95:96], s[16:17], v[81:82]
	v_fma_f64 v[40:41], v[95:96], s[16:17], -v[81:82]
	v_fma_f64 v[81:82], v[95:96], s[24:25], v[87:88]
	v_fma_f64 v[87:88], v[95:96], s[24:25], -v[87:88]
	v_add_f64 v[79:80], v[93:94], v[79:80]
	v_fma_f64 v[91:92], v[95:96], s[18:19], v[36:37]
	v_fma_f64 v[97:98], v[95:96], s[22:23], v[14:15]
	v_fma_f64 v[93:94], v[95:96], s[18:19], -v[36:37]
	v_fma_f64 v[14:15], v[95:96], s[22:23], -v[14:15]
	v_add_f64 v[2:3], v[2:3], v[70:71]
	v_add_f64 v[6:7], v[6:7], v[8:9]
	;; [unrolled: 1-line block ×9, first 2 shown]
	v_mov_b32_e32 v15, 3
	v_mul_u32_u24_e32 v14, 0xb58, v77
	v_lshlrev_b32_sdwa v15, v15, v78 dst_sel:DWORD dst_unused:UNUSED_PAD src0_sel:DWORD src1_sel:BYTE_0
	v_add3_u32 v77, 0, v14, v15
	ds_write2_b64 v77, v[2:3], v[4:5] offset1:33
	ds_write2_b64 v77, v[6:7], v[8:9] offset0:66 offset1:99
	ds_write2_b64 v77, v[10:11], v[79:80] offset0:132 offset1:165
	;; [unrolled: 1-line block ×3, first 2 shown]
	v_add_u32_e32 v78, 0x800, v77
	v_add_u32_e32 v79, 0x800, v73
	;; [unrolled: 1-line block ×3, first 2 shown]
	ds_write2_b64 v78, v[36:37], v[40:41] offset0:8 offset1:41
	ds_write_b64 v77, v[38:39] offset:2640
	s_waitcnt lgkmcnt(0)
	s_barrier
	ds_read2_b64 v[0:3], v73 offset1:132
	ds_read2_b64 v[8:11], v79 offset0:107 offset1:239
	ds_read2_b64 v[4:7], v80 offset0:86 offset1:218
	;; [unrolled: 1-line block ×3, first 2 shown]
	s_and_saveexec_b64 s[40:41], s[2:3]
	s_cbranch_execz .LBB0_23
; %bb.22:
	ds_read_b64 v[36:37], v73 offset:2112
	ds_read_b64 v[40:41], v73 offset:5016
	;; [unrolled: 1-line block ×4, first 2 shown]
.LBB0_23:
	s_or_b64 exec, exec, s[40:41]
	v_add_f64 v[81:82], v[16:17], v[68:69]
	v_add_f64 v[66:67], v[66:67], -v[70:71]
	v_add_f64 v[70:71], v[52:53], v[46:47]
	v_add_f64 v[58:59], v[58:59], -v[64:65]
	v_add_f64 v[64:65], v[50:51], v[48:49]
	v_add_f64 v[68:69], v[68:69], v[44:45]
	v_add_f64 v[54:55], v[54:55], -v[56:57]
	s_mov_b32 s41, 0x3fe82f19
	v_add_f64 v[52:53], v[81:82], v[52:53]
	s_mov_b32 s40, s20
	v_mul_f64 v[87:88], v[70:71], s[18:19]
	v_mul_f64 v[89:90], v[70:71], s[30:31]
	;; [unrolled: 1-line block ×6, first 2 shown]
	v_add_f64 v[50:51], v[52:53], v[50:51]
	v_mul_f64 v[85:86], v[68:69], s[24:25]
	v_mul_f64 v[68:69], v[68:69], s[30:31]
	;; [unrolled: 1-line block ×4, first 2 shown]
	v_fma_f64 v[99:100], v[66:67], s[34:35], v[56:57]
	v_fma_f64 v[56:57], v[66:67], s[6:7], v[56:57]
	;; [unrolled: 1-line block ×3, first 2 shown]
	v_add_f64 v[50:51], v[50:51], v[30:31]
	v_fma_f64 v[81:82], v[66:67], s[10:11], v[81:82]
	v_mul_f64 v[95:96], v[64:65], s[30:31]
	v_fma_f64 v[103:104], v[66:67], s[28:29], v[83:84]
	v_fma_f64 v[83:84], v[66:67], s[12:13], v[83:84]
	;; [unrolled: 1-line block ×5, first 2 shown]
	v_add_f64 v[50:51], v[50:51], v[22:23]
	v_fma_f64 v[66:67], v[66:67], s[26:27], v[68:69]
	v_fma_f64 v[68:69], v[58:59], s[38:39], v[87:88]
	;; [unrolled: 1-line block ×5, first 2 shown]
	v_add_f64 v[56:57], v[16:17], v[56:57]
	v_add_f64 v[81:82], v[16:17], v[81:82]
	;; [unrolled: 1-line block ×3, first 2 shown]
	v_mul_f64 v[93:94], v[64:65], s[22:23]
	v_mul_f64 v[97:98], v[64:65], s[18:19]
	v_fma_f64 v[111:112], v[58:59], s[26:27], v[89:90]
	v_fma_f64 v[89:90], v[58:59], s[36:37], v[89:90]
	;; [unrolled: 1-line block ×5, first 2 shown]
	v_add_f64 v[50:51], v[50:51], v[42:43]
	v_fma_f64 v[58:59], v[58:59], s[34:35], v[70:71]
	v_add_f64 v[99:100], v[16:17], v[99:100]
	v_add_f64 v[101:102], v[16:17], v[101:102]
	;; [unrolled: 1-line block ×11, first 2 shown]
	v_fma_f64 v[70:71], v[54:55], s[28:29], v[93:94]
	v_add_f64 v[66:67], v[68:69], v[99:100]
	v_add_f64 v[68:69], v[111:112], v[103:104]
	;; [unrolled: 1-line block ×4, first 2 shown]
	v_mul_f64 v[42:43], v[64:65], s[16:17]
	v_fma_f64 v[93:94], v[54:55], s[12:13], v[93:94]
	v_add_f64 v[16:17], v[58:59], v[16:17]
	v_fma_f64 v[58:59], v[54:55], s[10:11], v[97:98]
	v_fma_f64 v[117:118], v[54:55], s[26:27], v[95:96]
	v_add_f64 v[48:49], v[109:110], v[101:102]
	v_add_f64 v[87:88], v[46:47], v[44:45]
	v_fma_f64 v[44:45], v[54:55], s[36:37], v[95:96]
	v_add_f64 v[50:51], v[89:90], v[50:51]
	v_add_f64 v[81:82], v[113:114], v[83:84]
	;; [unrolled: 1-line block ×3, first 2 shown]
	v_add_f64 v[26:27], v[26:27], -v[28:29]
	v_mul_f64 v[28:29], v[30:31], s[24:25]
	v_fma_f64 v[66:67], v[54:55], s[34:35], v[42:43]
	v_add_f64 v[58:59], v[58:59], v[68:69]
	v_add_f64 v[44:45], v[44:45], v[52:53]
	v_mul_f64 v[52:53], v[64:65], s[24:25]
	v_fma_f64 v[64:65], v[54:55], s[38:39], v[97:98]
	v_mul_f64 v[68:69], v[30:31], s[22:23]
	v_add_f64 v[83:84], v[91:92], v[85:86]
	v_add_f64 v[56:57], v[93:94], v[56:57]
	;; [unrolled: 1-line block ×3, first 2 shown]
	v_fma_f64 v[42:43], v[54:55], s[6:7], v[42:43]
	v_add_f64 v[22:23], v[22:23], v[24:25]
	v_fma_f64 v[70:71], v[54:55], s[40:41], v[52:53]
	v_fma_f64 v[52:53], v[54:55], s[20:21], v[52:53]
	v_add_f64 v[50:51], v[64:65], v[50:51]
	v_fma_f64 v[54:55], v[26:27], s[40:41], v[28:29]
	v_add_f64 v[64:65], v[66:67], v[81:82]
	v_fma_f64 v[28:29], v[26:27], s[20:21], v[28:29]
	v_fma_f64 v[66:67], v[26:27], s[12:13], v[68:69]
	v_mul_f64 v[81:82], v[30:31], s[16:17]
	v_add_f64 v[85:86], v[115:116], v[105:106]
	v_add_f64 v[16:17], v[52:53], v[16:17]
	v_mul_f64 v[52:53], v[30:31], s[30:31]
	v_add_f64 v[42:43], v[42:43], v[83:84]
	v_fma_f64 v[24:25], v[26:27], s[28:29], v[68:69]
	v_add_f64 v[28:29], v[28:29], v[56:57]
	v_add_f64 v[48:49], v[66:67], v[48:49]
	v_mul_f64 v[30:31], v[30:31], s[18:19]
	v_fma_f64 v[56:57], v[26:27], s[6:7], v[81:82]
	v_add_f64 v[18:19], v[18:19], -v[20:21]
	v_fma_f64 v[66:67], v[26:27], s[36:37], v[52:53]
	v_fma_f64 v[52:53], v[26:27], s[26:27], v[52:53]
	v_mul_f64 v[20:21], v[22:23], s[30:31]
	v_add_f64 v[70:71], v[70:71], v[85:86]
	v_add_f64 v[46:47], v[54:55], v[46:47]
	v_fma_f64 v[54:55], v[26:27], s[34:35], v[81:82]
	v_add_f64 v[24:25], v[24:25], v[44:45]
	v_fma_f64 v[44:45], v[26:27], s[10:11], v[30:31]
	v_add_f64 v[50:51], v[56:57], v[50:51]
	v_add_f64 v[56:57], v[66:67], v[64:65]
	v_fma_f64 v[26:27], v[26:27], s[38:39], v[30:31]
	v_add_f64 v[30:31], v[52:53], v[42:43]
	v_fma_f64 v[42:43], v[18:19], s[36:37], v[20:21]
	v_fma_f64 v[20:21], v[18:19], s[26:27], v[20:21]
	v_mul_f64 v[52:53], v[22:23], s[16:17]
	v_mul_f64 v[64:65], v[22:23], s[24:25]
	;; [unrolled: 1-line block ×4, first 2 shown]
	v_add_f64 v[54:55], v[54:55], v[58:59]
	v_add_f64 v[58:59], v[44:45], v[70:71]
	;; [unrolled: 1-line block ×5, first 2 shown]
	v_fma_f64 v[20:21], v[18:19], s[6:7], v[52:53]
	v_fma_f64 v[28:29], v[18:19], s[34:35], v[52:53]
	;; [unrolled: 1-line block ×8, first 2 shown]
	v_add_f64 v[20:21], v[20:21], v[48:49]
	v_add_f64 v[46:47], v[28:29], v[24:25]
	;; [unrolled: 1-line block ×8, first 2 shown]
	s_waitcnt lgkmcnt(0)
	s_barrier
	ds_write2_b64 v77, v[87:88], v[26:27] offset1:33
	ds_write2_b64 v77, v[20:21], v[24:25] offset0:66 offset1:99
	ds_write2_b64 v77, v[28:29], v[48:49] offset0:132 offset1:165
	;; [unrolled: 1-line block ×4, first 2 shown]
	ds_write_b64 v77, v[44:45] offset:2640
	s_waitcnt lgkmcnt(0)
	s_barrier
	ds_read2_b64 v[16:19], v73 offset1:132
	ds_read2_b64 v[20:23], v79 offset0:107 offset1:239
	ds_read2_b64 v[28:31], v80 offset0:86 offset1:218
	v_add_u32_e32 v24, 0x2000, v73
	ds_read2_b64 v[24:27], v24 offset0:65 offset1:197
	s_and_saveexec_b64 s[6:7], s[2:3]
	s_cbranch_execz .LBB0_25
; %bb.24:
	ds_read_b64 v[42:43], v73 offset:2112
	ds_read_b64 v[46:47], v73 offset:5016
	;; [unrolled: 1-line block ×4, first 2 shown]
.LBB0_25:
	s_or_b64 exec, exec, s[6:7]
	s_and_saveexec_b64 s[6:7], s[0:1]
	s_cbranch_execz .LBB0_28
; %bb.26:
	v_mul_u32_u24_e32 v48, 3, v75
	v_lshlrev_b32_e32 v48, 4, v48
	v_mov_b32_e32 v50, s9
	v_add_co_u32_e32 v66, vcc, s8, v48
	v_addc_co_u32_e32 v73, vcc, 0, v50, vcc
	v_add_co_u32_e32 v48, vcc, 0x1600, v66
	v_mul_u32_u24_e32 v51, 3, v72
	v_addc_co_u32_e32 v49, vcc, 0, v73, vcc
	v_lshlrev_b32_e32 v51, 4, v51
	v_add_co_u32_e32 v52, vcc, s8, v51
	s_movk_i32 s1, 0x1600
	v_addc_co_u32_e32 v53, vcc, 0, v50, vcc
	v_add_co_u32_e32 v50, vcc, s1, v52
	s_movk_i32 s0, 0x1000
	v_addc_co_u32_e32 v51, vcc, 0, v53, vcc
	v_add_co_u32_e32 v64, vcc, s0, v52
	v_addc_co_u32_e32 v65, vcc, 0, v53, vcc
	v_add_co_u32_e32 v83, vcc, 0x1000, v66
	v_addc_co_u32_e32 v84, vcc, 0, v73, vcc
	global_load_dwordx4 v[52:55], v[64:65], off offset:1536
	global_load_dwordx4 v[56:59], v[50:51], off offset:32
	s_nop 0
	global_load_dwordx4 v[64:67], v[48:49], off offset:32
	global_load_dwordx4 v[68:71], v[48:49], off offset:16
	;; [unrolled: 1-line block ×4, first 2 shown]
	v_mul_lo_u32 v48, s5, v62
	v_mul_lo_u32 v63, s4, v63
	v_mad_u64_u32 v[50:51], s[4:5], s4, v62, 0
	v_mov_b32_e32 v62, s15
	s_mov_b32 s1, 0x691473a9
	v_add3_u32 v51, v51, v63, v48
	v_lshlrev_b64 v[50:51], 4, v[50:51]
	v_mul_hi_u32 v73, v72, s1
	v_add_co_u32_e32 v50, vcc, s14, v50
	v_addc_co_u32_e32 v51, vcc, v62, v51, vcc
	v_sub_u32_e32 v48, v72, v73
	v_lshrrev_b32_e32 v48, 1, v48
	v_add_u32_e32 v48, v48, v73
	v_lshlrev_b64 v[60:61], 4, v[60:61]
	v_lshrrev_b32_e32 v48, 8, v48
	v_mul_u32_u24_e32 v48, 0x16b, v48
	v_add_co_u32_e32 v50, vcc, v50, v60
	v_sub_u32_e32 v48, v72, v48
	v_addc_co_u32_e32 v51, vcc, v51, v61, vcc
	v_lshlrev_b32_e32 v48, 4, v48
	v_add_co_u32_e32 v60, vcc, v50, v48
	v_addc_co_u32_e32 v61, vcc, 0, v51, vcc
	s_movk_i32 s5, 0x2000
	v_mov_b32_e32 v49, 0
	s_movk_i32 s4, 0x16b
	s_waitcnt vmcnt(5)
	v_mul_f64 v[62:63], v[8:9], v[52:53]
	s_waitcnt vmcnt(4)
	v_mul_f64 v[83:84], v[12:13], v[56:57]
	v_mul_f64 v[8:9], v[8:9], v[54:55]
	;; [unrolled: 1-line block ×3, first 2 shown]
	s_waitcnt vmcnt(0)
	v_mul_f64 v[91:92], v[4:5], v[81:82]
	s_waitcnt lgkmcnt(1)
	v_mul_f64 v[81:82], v[28:29], v[81:82]
	v_mul_f64 v[85:86], v[6:7], v[70:71]
	;; [unrolled: 1-line block ×7, first 2 shown]
	v_fma_f64 v[54:55], v[20:21], v[54:55], v[62:63]
	s_waitcnt lgkmcnt(0)
	v_fma_f64 v[58:59], v[24:25], v[58:59], v[83:84]
	v_fma_f64 v[8:9], v[20:21], v[52:53], -v[8:9]
	v_fma_f64 v[12:13], v[24:25], v[56:57], -v[12:13]
	;; [unrolled: 1-line block ×3, first 2 shown]
	v_fma_f64 v[4:5], v[4:5], v[79:80], v[81:82]
	v_fma_f64 v[20:21], v[30:31], v[68:69], -v[85:86]
	v_fma_f64 v[24:25], v[26:27], v[66:67], v[87:88]
	v_fma_f64 v[6:7], v[6:7], v[68:69], v[70:71]
	v_fma_f64 v[14:15], v[26:27], v[64:65], -v[14:15]
	v_fma_f64 v[10:11], v[22:23], v[75:76], -v[10:11]
	v_fma_f64 v[22:23], v[22:23], v[77:78], v[89:90]
	v_add_f64 v[12:13], v[8:9], -v[12:13]
	v_add_f64 v[26:27], v[54:55], -v[58:59]
	;; [unrolled: 1-line block ×8, first 2 shown]
	v_fma_f64 v[4:5], v[8:9], 2.0, -v[12:13]
	v_fma_f64 v[8:9], v[54:55], 2.0, -v[26:27]
	;; [unrolled: 1-line block ×8, first 2 shown]
	v_add_f64 v[2:3], v[28:29], -v[26:27]
	v_add_f64 v[0:1], v[30:31], v[12:13]
	v_add_f64 v[6:7], v[24:25], -v[4:5]
	v_add_f64 v[4:5], v[54:55], -v[8:9]
	v_add_f64 v[8:9], v[56:57], v[14:15]
	v_add_f64 v[10:11], v[52:53], -v[20:21]
	v_add_f64 v[14:15], v[58:59], -v[16:17]
	;; [unrolled: 1-line block ×3, first 2 shown]
	v_fma_f64 v[18:19], v[28:29], 2.0, -v[2:3]
	v_fma_f64 v[16:17], v[30:31], 2.0, -v[0:1]
	;; [unrolled: 1-line block ×4, first 2 shown]
	v_add_co_u32_e32 v54, vcc, s0, v60
	v_addc_co_u32_e32 v55, vcc, 0, v61, vcc
	global_store_dwordx4 v[54:55], v[16:19], off offset:1712
	global_store_dwordx4 v[60:61], v[20:23], off
	v_add_co_u32_e32 v16, vcc, s5, v60
	v_addc_co_u32_e32 v17, vcc, 0, v61, vcc
	global_store_dwordx4 v[16:17], v[4:7], off offset:3424
	s_movk_i32 s5, 0x4000
	v_add_u32_e32 v6, 0x84, v72
	v_mul_hi_u32 v7, v6, s1
	v_add_co_u32_e32 v4, vcc, s5, v60
	v_addc_co_u32_e32 v5, vcc, 0, v61, vcc
	global_store_dwordx4 v[4:5], v[0:3], off offset:1040
	v_fma_f64 v[30:31], v[58:59], 2.0, -v[14:15]
	v_sub_u32_e32 v0, v6, v7
	v_lshrrev_b32_e32 v0, 1, v0
	v_add_u32_e32 v0, v0, v7
	v_fma_f64 v[28:29], v[62:63], 2.0, -v[12:13]
	v_lshrrev_b32_e32 v0, 8, v0
	v_mul_u32_u24_e32 v1, 0x16b, v0
	v_sub_u32_e32 v1, v6, v1
	s_movk_i32 s1, 0x5ac
	v_mad_u32_u24 v48, v0, s1, v1
	v_lshlrev_b64 v[0:1], 4, v[48:49]
	v_fma_f64 v[26:27], v[52:53], 2.0, -v[10:11]
	v_fma_f64 v[24:25], v[56:57], 2.0, -v[8:9]
	v_add_co_u32_e32 v0, vcc, v50, v0
	v_addc_co_u32_e32 v1, vcc, v51, v1, vcc
	global_store_dwordx4 v[0:1], v[28:31], off
	v_add_u32_e32 v0, 0x16b, v48
	v_mov_b32_e32 v1, v49
	v_lshlrev_b64 v[0:1], 4, v[0:1]
	v_add_co_u32_e32 v0, vcc, v50, v0
	v_addc_co_u32_e32 v1, vcc, v51, v1, vcc
	global_store_dwordx4 v[0:1], v[24:27], off
	v_add_u32_e32 v0, 0x2d6, v48
	v_mov_b32_e32 v1, v49
	v_lshlrev_b64 v[0:1], 4, v[0:1]
	v_add_u32_e32 v48, 0x441, v48
	v_add_co_u32_e32 v0, vcc, v50, v0
	v_addc_co_u32_e32 v1, vcc, v51, v1, vcc
	global_store_dwordx4 v[0:1], v[12:15], off
	v_lshlrev_b64 v[0:1], 4, v[48:49]
	v_add_co_u32_e32 v0, vcc, v50, v0
	v_addc_co_u32_e32 v1, vcc, v51, v1, vcc
	global_store_dwordx4 v[0:1], v[8:11], off
	v_add_u32_e32 v0, 0x108, v72
	v_cmp_gt_u32_e32 vcc, s4, v0
	s_and_b64 exec, exec, vcc
	s_cbranch_execz .LBB0_28
; %bb.27:
	v_add_u32_e32 v1, 0xffffff9d, v72
	v_cndmask_b32_e64 v1, v1, v74, s[2:3]
	v_mul_i32_i24_e32 v48, 3, v1
	v_lshlrev_b64 v[1:2], 4, v[48:49]
	v_mov_b32_e32 v3, s9
	v_add_co_u32_e32 v1, vcc, s8, v1
	v_addc_co_u32_e32 v12, vcc, v3, v2, vcc
	v_add_co_u32_e32 v9, vcc, 0x1600, v1
	v_addc_co_u32_e32 v10, vcc, 0, v12, vcc
	;; [unrolled: 2-line block ×3, first 2 shown]
	global_load_dwordx4 v[1:4], v[9:10], off offset:32
	global_load_dwordx4 v[5:8], v[9:10], off offset:16
	v_add_u32_e32 v48, 0x273, v72
	global_load_dwordx4 v[9:12], v[11:12], off offset:1536
	s_waitcnt vmcnt(2)
	v_mul_f64 v[15:16], v[34:35], v[3:4]
	s_waitcnt vmcnt(1)
	v_mul_f64 v[13:14], v[44:45], v[7:8]
	v_mul_f64 v[7:8], v[38:39], v[7:8]
	;; [unrolled: 1-line block ×3, first 2 shown]
	s_waitcnt vmcnt(0)
	v_mul_f64 v[17:18], v[46:47], v[11:12]
	v_mul_f64 v[11:12], v[40:41], v[11:12]
	v_fma_f64 v[13:14], v[38:39], v[5:6], v[13:14]
	v_fma_f64 v[5:6], v[44:45], v[5:6], -v[7:8]
	v_fma_f64 v[7:8], v[32:33], v[1:2], v[15:16]
	v_fma_f64 v[2:3], v[34:35], v[1:2], -v[3:4]
	;; [unrolled: 2-line block ×3, first 2 shown]
	v_mov_b32_e32 v1, v49
	v_lshlrev_b64 v[0:1], 4, v[0:1]
	v_add_f64 v[11:12], v[36:37], -v[13:14]
	v_add_f64 v[13:14], v[42:43], -v[5:6]
	v_add_co_u32_e32 v17, vcc, v50, v0
	v_add_f64 v[4:5], v[15:16], -v[7:8]
	v_add_f64 v[2:3], v[9:10], -v[2:3]
	v_addc_co_u32_e32 v18, vcc, v51, v1, vcc
	v_fma_f64 v[19:20], v[36:37], 2.0, -v[11:12]
	v_fma_f64 v[21:22], v[42:43], 2.0, -v[13:14]
	;; [unrolled: 1-line block ×4, first 2 shown]
	v_add_f64 v[0:1], v[11:12], v[2:3]
	v_add_f64 v[2:3], v[13:14], -v[4:5]
	v_lshlrev_b64 v[15:16], 4, v[48:49]
	v_add_u32_e32 v48, 0x3de, v72
	v_add_co_u32_e32 v25, vcc, v50, v15
	v_add_f64 v[4:5], v[19:20], -v[6:7]
	v_add_f64 v[6:7], v[21:22], -v[8:9]
	v_fma_f64 v[8:9], v[11:12], 2.0, -v[0:1]
	v_fma_f64 v[10:11], v[13:14], 2.0, -v[2:3]
	v_lshlrev_b64 v[23:24], 4, v[48:49]
	v_add_u32_e32 v48, 0x549, v72
	v_addc_co_u32_e32 v26, vcc, v51, v16, vcc
	v_fma_f64 v[12:13], v[19:20], 2.0, -v[4:5]
	v_fma_f64 v[14:15], v[21:22], 2.0, -v[6:7]
	v_lshlrev_b64 v[27:28], 4, v[48:49]
	v_add_co_u32_e32 v19, vcc, v50, v23
	v_addc_co_u32_e32 v20, vcc, v51, v24, vcc
	v_add_co_u32_e32 v21, vcc, v50, v27
	v_addc_co_u32_e32 v22, vcc, v51, v28, vcc
	global_store_dwordx4 v[25:26], v[8:11], off
	global_store_dwordx4 v[19:20], v[4:7], off
	;; [unrolled: 1-line block ×4, first 2 shown]
.LBB0_28:
	s_endpgm
	.section	.rodata,"a",@progbits
	.p2align	6, 0x0
	.amdhsa_kernel fft_rtc_back_len1452_factors_11_3_11_4_wgs_132_tpt_132_halfLds_dp_op_CI_CI_unitstride_sbrr_dirReg
		.amdhsa_group_segment_fixed_size 0
		.amdhsa_private_segment_fixed_size 0
		.amdhsa_kernarg_size 104
		.amdhsa_user_sgpr_count 6
		.amdhsa_user_sgpr_private_segment_buffer 1
		.amdhsa_user_sgpr_dispatch_ptr 0
		.amdhsa_user_sgpr_queue_ptr 0
		.amdhsa_user_sgpr_kernarg_segment_ptr 1
		.amdhsa_user_sgpr_dispatch_id 0
		.amdhsa_user_sgpr_flat_scratch_init 0
		.amdhsa_user_sgpr_private_segment_size 0
		.amdhsa_uses_dynamic_stack 0
		.amdhsa_system_sgpr_private_segment_wavefront_offset 0
		.amdhsa_system_sgpr_workgroup_id_x 1
		.amdhsa_system_sgpr_workgroup_id_y 0
		.amdhsa_system_sgpr_workgroup_id_z 0
		.amdhsa_system_sgpr_workgroup_info 0
		.amdhsa_system_vgpr_workitem_id 0
		.amdhsa_next_free_vgpr 127
		.amdhsa_next_free_sgpr 42
		.amdhsa_reserve_vcc 1
		.amdhsa_reserve_flat_scratch 0
		.amdhsa_float_round_mode_32 0
		.amdhsa_float_round_mode_16_64 0
		.amdhsa_float_denorm_mode_32 3
		.amdhsa_float_denorm_mode_16_64 3
		.amdhsa_dx10_clamp 1
		.amdhsa_ieee_mode 1
		.amdhsa_fp16_overflow 0
		.amdhsa_exception_fp_ieee_invalid_op 0
		.amdhsa_exception_fp_denorm_src 0
		.amdhsa_exception_fp_ieee_div_zero 0
		.amdhsa_exception_fp_ieee_overflow 0
		.amdhsa_exception_fp_ieee_underflow 0
		.amdhsa_exception_fp_ieee_inexact 0
		.amdhsa_exception_int_div_zero 0
	.end_amdhsa_kernel
	.text
.Lfunc_end0:
	.size	fft_rtc_back_len1452_factors_11_3_11_4_wgs_132_tpt_132_halfLds_dp_op_CI_CI_unitstride_sbrr_dirReg, .Lfunc_end0-fft_rtc_back_len1452_factors_11_3_11_4_wgs_132_tpt_132_halfLds_dp_op_CI_CI_unitstride_sbrr_dirReg
                                        ; -- End function
	.section	.AMDGPU.csdata,"",@progbits
; Kernel info:
; codeLenInByte = 10496
; NumSgprs: 46
; NumVgprs: 127
; ScratchSize: 0
; MemoryBound: 1
; FloatMode: 240
; IeeeMode: 1
; LDSByteSize: 0 bytes/workgroup (compile time only)
; SGPRBlocks: 5
; VGPRBlocks: 31
; NumSGPRsForWavesPerEU: 46
; NumVGPRsForWavesPerEU: 127
; Occupancy: 2
; WaveLimiterHint : 1
; COMPUTE_PGM_RSRC2:SCRATCH_EN: 0
; COMPUTE_PGM_RSRC2:USER_SGPR: 6
; COMPUTE_PGM_RSRC2:TRAP_HANDLER: 0
; COMPUTE_PGM_RSRC2:TGID_X_EN: 1
; COMPUTE_PGM_RSRC2:TGID_Y_EN: 0
; COMPUTE_PGM_RSRC2:TGID_Z_EN: 0
; COMPUTE_PGM_RSRC2:TIDIG_COMP_CNT: 0
	.type	__hip_cuid_9c2db8275bf83ce5,@object ; @__hip_cuid_9c2db8275bf83ce5
	.section	.bss,"aw",@nobits
	.globl	__hip_cuid_9c2db8275bf83ce5
__hip_cuid_9c2db8275bf83ce5:
	.byte	0                               ; 0x0
	.size	__hip_cuid_9c2db8275bf83ce5, 1

	.ident	"AMD clang version 19.0.0git (https://github.com/RadeonOpenCompute/llvm-project roc-6.4.0 25133 c7fe45cf4b819c5991fe208aaa96edf142730f1d)"
	.section	".note.GNU-stack","",@progbits
	.addrsig
	.addrsig_sym __hip_cuid_9c2db8275bf83ce5
	.amdgpu_metadata
---
amdhsa.kernels:
  - .args:
      - .actual_access:  read_only
        .address_space:  global
        .offset:         0
        .size:           8
        .value_kind:     global_buffer
      - .offset:         8
        .size:           8
        .value_kind:     by_value
      - .actual_access:  read_only
        .address_space:  global
        .offset:         16
        .size:           8
        .value_kind:     global_buffer
      - .actual_access:  read_only
        .address_space:  global
        .offset:         24
        .size:           8
        .value_kind:     global_buffer
      - .actual_access:  read_only
        .address_space:  global
        .offset:         32
        .size:           8
        .value_kind:     global_buffer
      - .offset:         40
        .size:           8
        .value_kind:     by_value
      - .actual_access:  read_only
        .address_space:  global
        .offset:         48
        .size:           8
        .value_kind:     global_buffer
      - .actual_access:  read_only
        .address_space:  global
        .offset:         56
        .size:           8
        .value_kind:     global_buffer
      - .offset:         64
        .size:           4
        .value_kind:     by_value
      - .actual_access:  read_only
        .address_space:  global
        .offset:         72
        .size:           8
        .value_kind:     global_buffer
      - .actual_access:  read_only
        .address_space:  global
        .offset:         80
        .size:           8
        .value_kind:     global_buffer
      - .actual_access:  read_only
        .address_space:  global
        .offset:         88
        .size:           8
        .value_kind:     global_buffer
      - .actual_access:  write_only
        .address_space:  global
        .offset:         96
        .size:           8
        .value_kind:     global_buffer
    .group_segment_fixed_size: 0
    .kernarg_segment_align: 8
    .kernarg_segment_size: 104
    .language:       OpenCL C
    .language_version:
      - 2
      - 0
    .max_flat_workgroup_size: 132
    .name:           fft_rtc_back_len1452_factors_11_3_11_4_wgs_132_tpt_132_halfLds_dp_op_CI_CI_unitstride_sbrr_dirReg
    .private_segment_fixed_size: 0
    .sgpr_count:     46
    .sgpr_spill_count: 0
    .symbol:         fft_rtc_back_len1452_factors_11_3_11_4_wgs_132_tpt_132_halfLds_dp_op_CI_CI_unitstride_sbrr_dirReg.kd
    .uniform_work_group_size: 1
    .uses_dynamic_stack: false
    .vgpr_count:     127
    .vgpr_spill_count: 0
    .wavefront_size: 64
amdhsa.target:   amdgcn-amd-amdhsa--gfx906
amdhsa.version:
  - 1
  - 2
...

	.end_amdgpu_metadata
